;; amdgpu-corpus repo=ROCm/rocFFT kind=compiled arch=gfx906 opt=O3
	.text
	.amdgcn_target "amdgcn-amd-amdhsa--gfx906"
	.amdhsa_code_object_version 6
	.protected	fft_rtc_back_len343_factors_7_7_7_wgs_245_tpt_49_half_op_CI_CI_sbrc_unaligned ; -- Begin function fft_rtc_back_len343_factors_7_7_7_wgs_245_tpt_49_half_op_CI_CI_sbrc_unaligned
	.globl	fft_rtc_back_len343_factors_7_7_7_wgs_245_tpt_49_half_op_CI_CI_sbrc_unaligned
	.p2align	8
	.type	fft_rtc_back_len343_factors_7_7_7_wgs_245_tpt_49_half_op_CI_CI_sbrc_unaligned,@function
fft_rtc_back_len343_factors_7_7_7_wgs_245_tpt_49_half_op_CI_CI_sbrc_unaligned: ; @fft_rtc_back_len343_factors_7_7_7_wgs_245_tpt_49_half_op_CI_CI_sbrc_unaligned
; %bb.0:
	s_load_dwordx8 s[8:15], s[4:5], 0x0
	s_mov_b32 s30, 0
	s_mov_b64 s[34:35], 2
	s_mov_b32 s40, s30
	s_waitcnt lgkmcnt(0)
	s_load_dword s33, s[12:13], 0x8
	s_load_dwordx4 s[20:23], s[4:5], 0x58
	s_load_dwordx2 s[28:29], s[4:5], 0x20
	s_load_dwordx4 s[24:27], s[14:15], 0x0
	s_waitcnt lgkmcnt(0)
	s_add_i32 s0, s33, -1
	s_mul_hi_u32 s0, s0, 0xcccccccd
	s_lshr_b32 s0, s0, 2
	s_add_i32 s7, s0, 1
	v_cvt_f32_u32_e32 v1, s7
	s_sub_i32 s2, 0, s7
	s_load_dwordx4 s[16:19], s[28:29], 0x0
	v_cmp_gt_u64_e64 s[0:1], s[10:11], 2
	v_rcp_iflag_f32_e32 v1, v1
	v_mul_f32_e32 v1, 0x4f7ffffe, v1
	v_cvt_u32_f32_e32 v1, v1
	v_readfirstlane_b32 s3, v1
	s_mul_i32 s2, s2, s3
	s_mul_hi_u32 s2, s3, s2
	s_add_i32 s3, s3, s2
	s_mul_hi_u32 s2, s6, s3
	s_mul_i32 s3, s2, s7
	s_sub_i32 s3, s6, s3
	s_add_i32 s4, s2, 1
	s_sub_i32 s5, s3, s7
	s_cmp_ge_u32 s3, s7
	s_cselect_b32 s2, s4, s2
	s_cselect_b32 s3, s5, s3
	s_add_i32 s4, s2, 1
	s_cmp_ge_u32 s3, s7
	s_cselect_b32 s27, s4, s2
	s_and_b64 vcc, exec, s[0:1]
	s_mul_i32 s0, s27, s7
	s_waitcnt lgkmcnt(0)
	s_sub_i32 s19, s6, s0
	s_mul_i32 s19, s19, 5
	s_mul_i32 s0, s17, s19
	s_mul_hi_u32 s1, s16, s19
	s_mul_i32 s41, s19, s26
	s_mul_i32 s2, s16, s19
	s_add_i32 s3, s1, s0
	s_cbranch_vccz .LBB0_9
; %bb.1:
	v_mov_b32_e32 v1, s10
	s_mov_b32 s4, 3
	v_mov_b32_e32 v2, s11
.LBB0_2:                                ; =>This Inner Loop Header: Depth=1
	s_lshl_b64 s[34:35], s[34:35], 3
	s_add_u32 s0, s12, s34
	s_addc_u32 s1, s13, s35
	s_load_dwordx2 s[36:37], s[0:1], 0x0
	s_waitcnt lgkmcnt(0)
	s_mov_b32 s31, s37
	s_cmp_lg_u64 s[30:31], 0
	s_cbranch_scc0 .LBB0_7
; %bb.3:                                ;   in Loop: Header=BB0_2 Depth=1
	v_cvt_f32_u32_e32 v3, s36
	v_cvt_f32_u32_e32 v4, s37
	s_sub_u32 s0, 0, s36
	s_subb_u32 s1, 0, s37
	v_mac_f32_e32 v3, 0x4f800000, v4
	v_rcp_f32_e32 v3, v3
	v_mul_f32_e32 v3, 0x5f7ffffc, v3
	v_mul_f32_e32 v4, 0x2f800000, v3
	v_trunc_f32_e32 v4, v4
	v_mac_f32_e32 v3, 0xcf800000, v4
	v_cvt_u32_f32_e32 v4, v4
	v_cvt_u32_f32_e32 v3, v3
	v_readfirstlane_b32 s5, v4
	v_readfirstlane_b32 s31, v3
	s_mul_i32 s38, s0, s5
	s_mul_hi_u32 s42, s0, s31
	s_mul_i32 s39, s1, s31
	s_add_i32 s38, s42, s38
	s_mul_i32 s43, s0, s31
	s_add_i32 s38, s38, s39
	s_mul_hi_u32 s39, s31, s38
	s_mul_i32 s42, s31, s38
	s_mul_hi_u32 s31, s31, s43
	s_add_u32 s31, s31, s42
	s_addc_u32 s39, 0, s39
	s_mul_hi_u32 s44, s5, s43
	s_mul_i32 s43, s5, s43
	s_add_u32 s31, s31, s43
	s_mul_hi_u32 s42, s5, s38
	s_addc_u32 s31, s39, s44
	s_addc_u32 s39, s42, 0
	s_mul_i32 s38, s5, s38
	s_add_u32 s31, s31, s38
	s_addc_u32 s38, 0, s39
	v_add_co_u32_e32 v3, vcc, s31, v3
	s_cmp_lg_u64 vcc, 0
	s_addc_u32 s5, s5, s38
	v_readfirstlane_b32 s38, v3
	s_mul_i32 s31, s0, s5
	s_mul_hi_u32 s39, s0, s38
	s_add_i32 s31, s39, s31
	s_mul_i32 s1, s1, s38
	s_add_i32 s31, s31, s1
	s_mul_i32 s0, s0, s38
	s_mul_hi_u32 s39, s5, s0
	s_mul_i32 s42, s5, s0
	s_mul_i32 s44, s38, s31
	s_mul_hi_u32 s0, s38, s0
	s_mul_hi_u32 s43, s38, s31
	s_add_u32 s0, s0, s44
	s_addc_u32 s38, 0, s43
	s_add_u32 s0, s0, s42
	s_mul_hi_u32 s1, s5, s31
	s_addc_u32 s0, s38, s39
	s_addc_u32 s1, s1, 0
	s_mul_i32 s31, s5, s31
	s_add_u32 s0, s0, s31
	s_addc_u32 s1, 0, s1
	v_add_co_u32_e32 v3, vcc, s0, v3
	s_cmp_lg_u64 vcc, 0
	s_addc_u32 s0, s5, s1
	v_readfirstlane_b32 s5, v3
	s_mul_hi_u32 s1, s27, s0
	s_mul_i32 s0, s27, s0
	s_mul_hi_u32 s5, s27, s5
	s_add_u32 s0, s5, s0
	s_addc_u32 s5, 0, s1
	s_mul_i32 s0, s37, s5
	s_mul_hi_u32 s1, s36, s5
	s_add_i32 s31, s1, s0
	s_mul_i32 s1, s36, s5
	v_mov_b32_e32 v3, s1
	s_sub_i32 s0, 0, s31
	v_sub_co_u32_e32 v3, vcc, s27, v3
	s_cmp_lg_u64 vcc, 0
	s_subb_u32 s38, s0, s37
	v_subrev_co_u32_e64 v4, s[0:1], s36, v3
	s_cmp_lg_u64 s[0:1], 0
	s_subb_u32 s0, s38, 0
	s_cmp_ge_u32 s0, s37
	v_readfirstlane_b32 s38, v4
	s_cselect_b32 s1, -1, 0
	s_cmp_ge_u32 s38, s36
	s_cselect_b32 s38, -1, 0
	s_cmp_eq_u32 s0, s37
	s_cselect_b32 s0, s38, s1
	s_add_u32 s1, s5, 1
	s_addc_u32 s38, 0, 0
	s_add_u32 s39, s5, 2
	s_addc_u32 s42, 0, 0
	s_cmp_lg_u32 s0, 0
	s_cselect_b32 s0, s39, s1
	s_cselect_b32 s1, s42, s38
	s_cmp_lg_u64 vcc, 0
	s_subb_u32 s31, 0, s31
	s_cmp_ge_u32 s31, s37
	v_readfirstlane_b32 s39, v3
	s_cselect_b32 s38, -1, 0
	s_cmp_ge_u32 s39, s36
	s_cselect_b32 s39, -1, 0
	s_cmp_eq_u32 s31, s37
	s_cselect_b32 s31, s39, s38
	s_cmp_lg_u32 s31, 0
	s_cselect_b32 s1, s1, 0
	s_cselect_b32 s0, s0, s5
	s_cbranch_execnz .LBB0_5
.LBB0_4:                                ;   in Loop: Header=BB0_2 Depth=1
	v_cvt_f32_u32_e32 v3, s36
	s_sub_i32 s0, 0, s36
	v_rcp_iflag_f32_e32 v3, v3
	v_mul_f32_e32 v3, 0x4f7ffffe, v3
	v_cvt_u32_f32_e32 v3, v3
	v_readfirstlane_b32 s1, v3
	s_mul_i32 s0, s0, s1
	s_mul_hi_u32 s0, s1, s0
	s_add_i32 s1, s1, s0
	s_mul_hi_u32 s0, s27, s1
	s_mul_i32 s5, s0, s36
	s_sub_i32 s5, s27, s5
	s_add_i32 s1, s0, 1
	s_sub_i32 s31, s5, s36
	s_cmp_ge_u32 s5, s36
	s_cselect_b32 s0, s1, s0
	s_cselect_b32 s5, s31, s5
	s_add_i32 s1, s0, 1
	s_cmp_ge_u32 s5, s36
	s_cselect_b32 s0, s1, s0
	s_mov_b32 s1, s30
.LBB0_5:                                ;   in Loop: Header=BB0_2 Depth=1
	s_mul_i32 s5, s0, s37
	s_mul_hi_u32 s31, s0, s36
	s_add_i32 s5, s31, s5
	s_mul_i32 s1, s1, s36
	s_add_i32 s5, s5, s1
	s_mul_i32 s1, s0, s36
	s_sub_u32 s1, s27, s1
	s_subb_u32 s5, 0, s5
	s_add_u32 s38, s14, s34
	s_addc_u32 s39, s15, s35
	s_load_dwordx2 s[38:39], s[38:39], 0x0
	s_mul_i32 s7, s7, s36
	s_waitcnt lgkmcnt(0)
	s_mul_i32 s27, s38, s5
	s_mul_hi_u32 s31, s38, s1
	s_add_i32 s27, s31, s27
	s_mul_i32 s31, s39, s1
	s_add_i32 s27, s27, s31
	s_mul_i32 s31, s38, s1
	s_add_u32 s41, s31, s41
	s_addc_u32 s40, s27, s40
	s_add_u32 s34, s28, s34
	s_addc_u32 s35, s29, s35
	s_load_dwordx2 s[34:35], s[34:35], 0x0
	s_waitcnt lgkmcnt(0)
	s_mul_i32 s5, s34, s5
	s_mul_hi_u32 s27, s34, s1
	s_add_i32 s5, s27, s5
	s_mul_i32 s27, s35, s1
	s_add_i32 s5, s5, s27
	s_mul_i32 s1, s34, s1
	s_add_u32 s2, s1, s2
	s_addc_u32 s3, s5, s3
	s_mov_b32 s5, s30
	v_cmp_ge_u64_e32 vcc, s[4:5], v[1:2]
	s_mov_b64 s[34:35], s[4:5]
	s_add_i32 s4, s4, 1
	s_cbranch_vccnz .LBB0_8
; %bb.6:                                ;   in Loop: Header=BB0_2 Depth=1
	s_mov_b32 s27, s0
	s_branch .LBB0_2
.LBB0_7:                                ;   in Loop: Header=BB0_2 Depth=1
                                        ; implicit-def: $sgpr0_sgpr1
	s_branch .LBB0_4
.LBB0_8:
	v_cvt_f32_u32_e32 v1, s7
	s_sub_i32 s0, 0, s7
	v_rcp_iflag_f32_e32 v1, v1
	v_mul_f32_e32 v1, 0x4f7ffffe, v1
	v_cvt_u32_f32_e32 v1, v1
	v_readfirstlane_b32 s1, v1
	s_mul_i32 s0, s0, s1
	s_mul_hi_u32 s0, s1, s0
	s_add_i32 s1, s1, s0
	s_mul_hi_u32 s0, s6, s1
	s_mul_i32 s1, s0, s7
	s_sub_i32 s1, s6, s1
	s_add_i32 s4, s0, 1
	s_sub_i32 s5, s1, s7
	s_cmp_ge_u32 s1, s7
	s_cselect_b32 s0, s4, s0
	s_cselect_b32 s1, s5, s1
	s_add_i32 s4, s0, 1
	s_cmp_ge_u32 s1, s7
	s_cselect_b32 s27, s4, s0
.LBB0_9:
	s_lshl_b64 s[0:1], s[10:11], 3
	s_add_u32 s4, s14, s0
	s_addc_u32 s5, s15, s1
	s_load_dwordx2 s[4:5], s[4:5], 0x0
	s_mov_b64 s[10:11], -1
	v_lshl_add_u32 v3, v0, 2, 0
	s_waitcnt lgkmcnt(0)
	s_mul_i32 s5, s5, s27
	s_mul_hi_u32 s6, s4, s27
	s_mul_i32 s4, s4, s27
	s_add_i32 s5, s6, s5
	s_add_u32 s6, s4, s41
	s_addc_u32 s7, s5, s40
	s_add_u32 s0, s28, s0
	s_addc_u32 s1, s29, s1
	s_load_dwordx2 s[0:1], s[0:1], 0x0
	s_add_i32 s4, s19, 5
	s_cmp_le_u32 s4, s33
	s_cselect_b64 s[4:5], -1, 0
	s_and_b64 vcc, exec, s[4:5]
	s_cbranch_vccnz .LBB0_13
; %bb.10:
	s_lshl_b64 s[10:11], s[6:7], 2
	s_add_u32 s12, s20, s10
	s_addc_u32 s14, s21, s11
	s_mov_b64 s[10:11], 0
	s_movk_i32 s13, 0x7e23
	v_mov_b32_e32 v2, 0
	v_mov_b32_e32 v4, s14
	s_movk_i32 s14, 0x6b2
	v_mov_b32_e32 v5, v0
	v_mov_b32_e32 v6, v3
.LBB0_11:                               ; =>This Inner Loop Header: Depth=1
	v_mul_u32_u24_sdwa v1, v5, s13 dst_sel:DWORD dst_unused:UNUSED_PAD src0_sel:WORD_0 src1_sel:DWORD
	v_sub_u16_sdwa v7, v5, v1 dst_sel:DWORD dst_unused:UNUSED_PAD src0_sel:DWORD src1_sel:WORD_1
	v_lshrrev_b16_e32 v7, 1, v7
	v_add_u16_sdwa v1, v7, v1 dst_sel:DWORD dst_unused:UNUSED_PAD src0_sel:DWORD src1_sel:WORD_1
	v_lshrrev_b16_e32 v1, 8, v1
	v_mul_lo_u16_e32 v7, 0x157, v1
	v_sub_u16_e32 v11, v5, v7
	v_mul_lo_u32 v1, s26, v1
	v_mad_u64_u32 v[7:8], s[28:29], s24, v11, 0
	v_add_u32_e32 v5, 0xf5, v5
	v_lshlrev_b64 v[9:10], 2, v[1:2]
	v_mov_b32_e32 v1, v8
	v_mad_u64_u32 v[11:12], s[28:29], s25, v11, v[1:2]
	v_mov_b32_e32 v8, v11
	v_lshlrev_b64 v[7:8], 2, v[7:8]
	v_add_co_u32_e32 v1, vcc, s12, v7
	v_addc_co_u32_e32 v8, vcc, v4, v8, vcc
	v_add_co_u32_e32 v7, vcc, v1, v9
	v_addc_co_u32_e32 v8, vcc, v8, v10, vcc
	global_load_dword v1, v[7:8], off
	v_cmp_lt_u32_e32 vcc, s14, v5
	s_or_b64 s[10:11], vcc, s[10:11]
	s_waitcnt vmcnt(0)
	ds_write_b32 v6, v1
	v_add_u32_e32 v6, 0x3d4, v6
	s_andn2_b64 exec, exec, s[10:11]
	s_cbranch_execnz .LBB0_11
; %bb.12:
	s_or_b64 exec, exec, s[10:11]
	s_mov_b64 s[10:11], 0
.LBB0_13:
	s_and_b64 vcc, exec, s[10:11]
	s_cbranch_vccz .LBB0_15
; %bb.14:
	v_and_b32_e32 v4, 0xffff, v0
	v_mad_u64_u32 v[1:2], s[10:11], s24, v4, 0
	s_lshl_b64 s[6:7], s[6:7], 2
	s_add_u32 s12, s20, s6
	v_mad_u64_u32 v[4:5], s[10:11], s25, v4, v[2:3]
	v_add_u32_e32 v5, 0xf5, v0
	v_mul_u32_u24_e32 v6, 0x17f, v5
	v_lshrrev_b32_e32 v7, 17, v6
	v_mov_b32_e32 v2, v4
	v_mul_lo_u16_e32 v4, 0x157, v7
	v_sub_u16_e32 v6, v5, v4
	v_mad_u64_u32 v[4:5], s[10:11], s24, v6, 0
	v_lshlrev_b64 v[1:2], 2, v[1:2]
	s_addc_u32 s10, s21, s7
	v_mov_b32_e32 v8, s10
	v_add_co_u32_e32 v1, vcc, s12, v1
	v_addc_co_u32_e32 v2, vcc, v8, v2, vcc
	v_add_u32_e32 v8, 0x1ea, v0
	v_mul_u32_u24_e32 v9, 0x2fd, v8
	v_mad_u64_u32 v[5:6], s[6:7], s25, v6, v[5:6]
	v_lshrrev_b32_e32 v11, 18, v9
	v_mul_lo_u16_e32 v9, 0x157, v11
	v_sub_u16_e32 v12, v8, v9
	v_mul_lo_u32 v6, s26, v7
	v_mad_u64_u32 v[8:9], s[6:7], s24, v12, 0
	v_lshlrev_b64 v[4:5], 2, v[4:5]
	v_mov_b32_e32 v7, 0
	v_mov_b32_e32 v10, s10
	v_add_co_u32_e32 v13, vcc, s12, v4
	v_addc_co_u32_e32 v14, vcc, v10, v5, vcc
	v_lshlrev_b64 v[4:5], 2, v[6:7]
	v_mov_b32_e32 v6, v9
	v_mad_u64_u32 v[9:10], s[6:7], s25, v12, v[6:7]
	v_add_u32_e32 v10, 0x2df, v0
	v_mul_lo_u32 v6, s26, v11
	v_mul_u32_u24_e32 v11, 0x2fd, v10
	v_add_co_u32_e32 v4, vcc, v13, v4
	v_lshrrev_b32_e32 v13, 18, v11
	v_mul_lo_u16_e32 v11, 0x157, v13
	v_addc_co_u32_e32 v5, vcc, v14, v5, vcc
	v_sub_u16_e32 v14, v10, v11
	v_mad_u64_u32 v[10:11], s[6:7], s24, v14, 0
	v_lshlrev_b64 v[8:9], 2, v[8:9]
	v_mov_b32_e32 v12, s10
	v_add_co_u32_e32 v15, vcc, s12, v8
	v_addc_co_u32_e32 v16, vcc, v12, v9, vcc
	v_lshlrev_b64 v[8:9], 2, v[6:7]
	v_mov_b32_e32 v6, v11
	v_mad_u64_u32 v[11:12], s[6:7], s25, v14, v[6:7]
	v_add_u32_e32 v12, 0x3d4, v0
	v_mul_lo_u32 v6, s26, v13
	v_mul_u32_u24_e32 v13, 0x5f9, v12
	v_add_co_u32_e32 v8, vcc, v15, v8
	v_lshrrev_b32_e32 v15, 19, v13
	v_mul_lo_u16_e32 v13, 0x157, v15
	v_addc_co_u32_e32 v9, vcc, v16, v9, vcc
	v_sub_u16_e32 v16, v12, v13
	v_mad_u64_u32 v[12:13], s[6:7], s24, v16, 0
	v_lshlrev_b64 v[10:11], 2, v[10:11]
	;; [unrolled: 16-line block ×4, first 2 shown]
	v_mov_b32_e32 v18, s10
	v_add_co_u32_e32 v21, vcc, s12, v14
	v_addc_co_u32_e32 v22, vcc, v18, v15, vcc
	v_lshlrev_b64 v[14:15], 2, v[6:7]
	v_mov_b32_e32 v6, v17
	v_mad_u64_u32 v[17:18], s[6:7], s25, v20, v[6:7]
	v_mul_lo_u32 v6, s26, v19
	v_add_co_u32_e32 v14, vcc, v21, v14
	v_lshlrev_b64 v[16:17], 2, v[16:17]
	v_addc_co_u32_e32 v15, vcc, v22, v15, vcc
	v_mov_b32_e32 v18, s10
	v_add_co_u32_e32 v16, vcc, s12, v16
	v_lshlrev_b64 v[6:7], 2, v[6:7]
	v_addc_co_u32_e32 v17, vcc, v18, v17, vcc
	v_add_co_u32_e32 v6, vcc, v16, v6
	v_addc_co_u32_e32 v7, vcc, v17, v7, vcc
	global_load_dword v16, v[1:2], off
	global_load_dword v17, v[4:5], off
	;; [unrolled: 1-line block ×7, first 2 shown]
	v_add_u32_e32 v1, 0x780, v3
	s_waitcnt vmcnt(5)
	ds_write2_b32 v3, v16, v17 offset1:245
	s_waitcnt vmcnt(3)
	ds_write2_b32 v1, v18, v19 offset0:10 offset1:255
	v_add_u32_e32 v1, 0xf40, v3
	s_waitcnt vmcnt(1)
	ds_write2_b32 v1, v20, v21 offset0:4 offset1:249
	s_waitcnt vmcnt(0)
	ds_write_b32 v3, v22 offset:5880
.LBB0_15:
	s_movk_i32 s6, 0x53a
	v_mul_u32_u24_sdwa v1, v0, s6 dst_sel:DWORD dst_unused:UNUSED_PAD src0_sel:WORD_0 src1_sel:DWORD
	v_add_u32_sdwa v1, s19, v1 dst_sel:DWORD dst_unused:UNUSED_PAD src0_sel:DWORD src1_sel:WORD_1
	s_mov_b32 s6, 0xcccccccd
	v_mul_hi_u32 v2, v1, s6
	s_mov_b32 s6, 0x539782a
	v_mul_hi_u32 v3, v0, s6
	s_waitcnt lgkmcnt(0)
	v_lshrrev_b32_e32 v2, 2, v2
	v_lshl_add_u32 v2, v2, 2, v2
	v_sub_u32_e32 v1, v1, v2
	v_mul_u32_u24_e32 v2, 49, v3
	v_mul_u32_u24_e32 v1, 0x157, v1
	v_sub_u32_e32 v4, v0, v2
	v_lshlrev_b32_e32 v15, 2, v1
	v_lshlrev_b32_e32 v2, 2, v4
	v_add3_u32 v1, 0, v2, v15
	v_add_u32_e32 v3, 0x200, v1
	v_add3_u32 v2, 0, v15, v2
	s_barrier
	ds_read2_b32 v[5:6], v1 offset0:49 offset1:98
	ds_read2_b32 v[7:8], v3 offset0:117 offset1:166
	ds_read_b32 v11, v2
	ds_read2_b32 v[9:10], v1 offset0:147 offset1:196
	s_movk_i32 s6, 0x3a52
	s_mov_b32 s10, 0xbb00
	s_movk_i32 s11, 0x39e0
	s_waitcnt lgkmcnt(2)
	v_pk_add_f16 v12, v5, v8
	v_pk_add_f16 v5, v5, v8 neg_lo:[0,1] neg_hi:[0,1]
	v_pk_add_f16 v8, v6, v7
	v_pk_add_f16 v6, v6, v7 neg_lo:[0,1] neg_hi:[0,1]
	s_waitcnt lgkmcnt(0)
	v_pk_add_f16 v7, v9, v10
	v_pk_add_f16 v9, v10, v9 neg_lo:[0,1] neg_hi:[0,1]
	v_pk_add_f16 v10, v8, v12
	v_pk_add_f16 v13, v8, v12 neg_lo:[0,1] neg_hi:[0,1]
	v_pk_add_f16 v12, v12, v7 neg_lo:[0,1] neg_hi:[0,1]
	v_pk_add_f16 v14, v9, v6 op_sel:[1,1] op_sel_hi:[0,0]
	v_pk_add_f16 v17, v6, v5 op_sel:[1,1] op_sel_hi:[0,0] neg_lo:[0,1] neg_hi:[0,1]
	v_pk_add_f16 v16, v5, v9 op_sel:[1,1] op_sel_hi:[0,0] neg_lo:[0,1] neg_hi:[0,1]
	v_pk_add_f16 v10, v7, v10
	v_pk_add_f16 v5, v14, v5 op_sel:[0,1] op_sel_hi:[1,0]
	v_pk_mul_f16 v12, v12, s6 op_sel_hi:[1,0]
	s_mov_b32 s7, 0xb574
	v_pk_mul_f16 v14, v17, s10 op_sel_hi:[1,0]
	v_pk_add_f16 v11, v10, v11
	s_mov_b32 s12, 0xbcab
	v_pk_fma_f16 v17, v13, s11, v12 op_sel_hi:[1,0,1] neg_lo:[1,0,1] neg_hi:[1,0,1]
	v_pk_fma_f16 v18, v16, s7, v14 op_sel_hi:[1,0,1] neg_lo:[1,0,1] neg_hi:[1,0,1]
	v_pk_mul_f16 v13, v13, s11 op_sel_hi:[1,0]
	v_pk_mul_f16 v16, v16, s7 op_sel_hi:[1,0]
	v_pk_add_f16 v7, v7, v8 neg_lo:[0,1] neg_hi:[0,1]
	v_pk_add_f16 v6, v9, v6 op_sel:[1,1] op_sel_hi:[0,0] neg_lo:[0,1] neg_hi:[0,1]
	s_movk_i32 s13, 0x2b26
	s_movk_i32 s15, 0x3846
	v_pk_fma_f16 v10, v10, s12, v11 op_sel_hi:[1,0,1]
	s_mov_b32 s6, 0xb70e
	v_pk_fma_f16 v8, v7, s13, v13 op_sel_hi:[1,0,1] neg_lo:[1,0,0] neg_hi:[1,0,0]
	v_pk_fma_f16 v9, v6, s15, v14 op_sel_hi:[1,0,1] neg_lo:[1,0,0] neg_hi:[1,0,0]
	v_pk_fma_f16 v7, v7, s13, v12 op_sel_hi:[1,0,1]
	v_pk_fma_f16 v6, v6, s15, v16 op_sel_hi:[1,0,1]
	v_pk_add_f16 v17, v17, v10
	v_pk_fma_f16 v18, v5, s6, v18 op_sel_hi:[1,0,1]
	v_pk_add_f16 v8, v8, v10
	;; [unrolled: 2-line block ×3, first 2 shown]
	v_pk_fma_f16 v5, v5, s6, v6 op_sel_hi:[1,0,1]
	s_mov_b32 s14, 0xffff
	v_pk_add_f16 v19, v17, v18
	v_pk_add_f16 v17, v17, v18 neg_lo:[0,1] neg_hi:[0,1]
	v_mad_u32_u24 v18, v4, 24, v1
	v_pk_add_f16 v13, v8, v9 neg_lo:[0,1] neg_hi:[0,1]
	v_pk_add_f16 v8, v8, v9
	v_pk_add_f16 v6, v7, v5
	v_pk_add_f16 v5, v7, v5 neg_lo:[0,1] neg_hi:[0,1]
	s_barrier
	ds_write_b32 v18, v11
	v_bfi_b32 v11, s14, v19, v17
	v_bfi_b32 v9, s14, v13, v8
	;; [unrolled: 1-line block ×5, first 2 shown]
	ds_write2_b32 v18, v9, v8 offset0:3 offset1:4
	v_bfi_b32 v8, s14, v17, v19
	ds_write2_b32 v18, v5, v11 offset0:1 offset1:2
	ds_write2_b32 v18, v8, v7 offset0:5 offset1:6
	v_mul_lo_u16_e32 v5, 37, v4
	v_lshrrev_b16_e32 v16, 8, v5
	v_mul_lo_u16_e32 v5, 7, v16
	v_sub_u16_e32 v17, v4, v5
	v_mov_b32_e32 v5, 6
	v_mul_u32_u24_sdwa v5, v17, v5 dst_sel:DWORD dst_unused:UNUSED_PAD src0_sel:BYTE_0 src1_sel:DWORD
	v_lshlrev_b32_e32 v11, 2, v5
	s_waitcnt lgkmcnt(0)
	s_barrier
	global_load_dwordx4 v[5:8], v11, s[8:9]
	global_load_dwordx2 v[9:10], v11, s[8:9] offset:16
	ds_read2_b32 v[11:12], v1 offset0:49 offset1:98
	ds_read2_b32 v[13:14], v1 offset0:147 offset1:196
	s_movk_i32 s14, 0xc4
	v_mad_u32_u24 v16, v16, s14, 0
	s_mov_b32 s14, 0xb9e0
	s_waitcnt lgkmcnt(1)
	v_lshrrev_b32_e32 v18, 16, v11
	v_lshrrev_b32_e32 v19, 16, v12
	s_movk_i32 s15, 0x3574
	v_mul_u32_u24_e32 v4, 6, v4
	s_waitcnt vmcnt(1)
	v_mul_f16_sdwa v20, v5, v18 dst_sel:DWORD dst_unused:UNUSED_PAD src0_sel:WORD_1 src1_sel:DWORD
	v_mul_f16_sdwa v21, v5, v11 dst_sel:DWORD dst_unused:UNUSED_PAD src0_sel:WORD_1 src1_sel:DWORD
	;; [unrolled: 1-line block ×3, first 2 shown]
	v_fma_f16 v18, v5, v18, -v21
	v_fma_f16 v11, v5, v11, v20
	v_mul_f16_sdwa v5, v6, v12 dst_sel:DWORD dst_unused:UNUSED_PAD src0_sel:WORD_1 src1_sel:DWORD
	v_fma_f16 v20, v6, v12, v22
	v_fma_f16 v12, v6, v19, -v5
	s_waitcnt lgkmcnt(0)
	v_lshrrev_b32_e32 v5, 16, v13
	v_mul_f16_sdwa v6, v7, v13 dst_sel:DWORD dst_unused:UNUSED_PAD src0_sel:WORD_1 src1_sel:DWORD
	v_fma_f16 v19, v7, v5, -v6
	v_mul_f16_sdwa v5, v7, v5 dst_sel:DWORD dst_unused:UNUSED_PAD src0_sel:WORD_1 src1_sel:DWORD
	v_fma_f16 v7, v7, v13, v5
	ds_read2_b32 v[5:6], v3 offset0:117 offset1:166
	v_lshrrev_b32_e32 v13, 16, v14
	v_mul_f16_sdwa v21, v8, v13 dst_sel:DWORD dst_unused:UNUSED_PAD src0_sel:WORD_1 src1_sel:DWORD
	v_fma_f16 v21, v8, v14, v21
	v_mul_f16_sdwa v14, v8, v14 dst_sel:DWORD dst_unused:UNUSED_PAD src0_sel:WORD_1 src1_sel:DWORD
	v_fma_f16 v8, v8, v13, -v14
	s_waitcnt lgkmcnt(0)
	v_lshrrev_b32_e32 v13, 16, v5
	s_waitcnt vmcnt(0)
	v_mul_f16_sdwa v14, v9, v5 dst_sel:DWORD dst_unused:UNUSED_PAD src0_sel:WORD_1 src1_sel:DWORD
	v_fma_f16 v14, v9, v13, -v14
	v_mul_f16_sdwa v13, v9, v13 dst_sel:DWORD dst_unused:UNUSED_PAD src0_sel:WORD_1 src1_sel:DWORD
	v_fma_f16 v5, v9, v5, v13
	v_lshrrev_b32_e32 v9, 16, v6
	v_mul_f16_sdwa v13, v10, v9 dst_sel:DWORD dst_unused:UNUSED_PAD src0_sel:WORD_1 src1_sel:DWORD
	v_fma_f16 v13, v10, v6, v13
	v_mul_f16_sdwa v6, v10, v6 dst_sel:DWORD dst_unused:UNUSED_PAD src0_sel:WORD_1 src1_sel:DWORD
	v_fma_f16 v6, v10, v9, -v6
	v_add_f16_e32 v9, v11, v13
	v_sub_f16_e32 v10, v11, v13
	v_add_f16_e32 v13, v20, v5
	v_sub_f16_e32 v5, v20, v5
	;; [unrolled: 2-line block ×3, first 2 shown]
	v_mov_b32_e32 v19, 2
	v_lshlrev_b32_sdwa v17, v19, v17 dst_sel:DWORD dst_unused:UNUSED_PAD src0_sel:DWORD src1_sel:BYTE_0
	ds_read_b32 v22, v2
	v_add_f16_e32 v11, v18, v6
	v_sub_f16_e32 v6, v18, v6
	v_add_f16_e32 v18, v12, v14
	v_sub_f16_e32 v12, v12, v14
	v_add_f16_e32 v14, v7, v21
	v_add3_u32 v15, v16, v17, v15
	v_add_f16_e32 v16, v13, v9
	v_sub_f16_e32 v7, v21, v7
	v_sub_f16_e32 v17, v13, v9
	;; [unrolled: 1-line block ×4, first 2 shown]
	v_add_f16_e32 v14, v14, v16
	v_add_f16_e32 v16, v18, v11
	v_sub_f16_e32 v19, v18, v11
	v_sub_f16_e32 v11, v11, v20
	v_sub_f16_e32 v18, v20, v18
	v_add_f16_e32 v16, v20, v16
	v_add_f16_e32 v20, v7, v5
	v_sub_f16_e32 v21, v7, v5
	v_sub_f16_e32 v7, v10, v7
	v_sub_f16_e32 v5, v5, v10
	v_add_f16_e32 v10, v20, v10
	v_add_f16_e32 v20, v8, v12
	v_sub_f16_e32 v23, v8, v12
	v_sub_f16_e32 v8, v6, v8
	v_sub_f16_e32 v12, v12, v6
	v_add_f16_e32 v6, v20, v6
	s_waitcnt lgkmcnt(0)
	v_add_f16_e32 v20, v14, v22
	v_add_f16_sdwa v22, v16, v22 dst_sel:DWORD dst_unused:UNUSED_PAD src0_sel:DWORD src1_sel:WORD_1
	v_lshlrev_b32_e32 v24, 16, v22
	v_or_b32_e32 v24, v24, v20
	v_fma_f16 v14, v14, s12, v20
	v_mul_f16_e32 v9, 0x3a52, v9
	v_mul_f16_e32 v20, 0x2b26, v13
	v_fma_f16 v13, v13, s13, v9
	v_fma_f16 v20, v17, s11, -v20
	v_fma_f16 v9, v17, s14, -v9
	v_mul_f16_e32 v11, 0x3a52, v11
	v_mul_f16_e32 v17, 0x2b26, v18
	v_fma_f16 v18, v18, s13, v11
	v_fma_f16 v17, v19, s11, -v17
	v_fma_f16 v11, v19, s14, -v11
	v_mul_f16_e32 v19, 0x3846, v21
	v_mul_f16_e32 v21, 0xbb00, v5
	v_fma_f16 v16, v16, s12, v22
	v_fma_f16 v5, v5, s10, -v19
	v_fma_f16 v19, v7, s7, v19
	v_fma_f16 v7, v7, s15, -v21
	v_mul_f16_e32 v21, 0x3846, v23
	v_mul_f16_e32 v22, 0xbb00, v12
	v_fma_f16 v12, v12, s10, -v21
	v_fma_f16 v21, v8, s7, v21
	v_fma_f16 v8, v8, s15, -v22
	v_add_f16_e32 v13, v13, v14
	v_add_f16_e32 v20, v20, v14
	;; [unrolled: 1-line block ×6, first 2 shown]
	v_fma_f16 v16, v10, s6, v19
	v_fma_f16 v5, v10, s6, v5
	;; [unrolled: 1-line block ×6, first 2 shown]
	v_sub_f16_e32 v8, v20, v12
	v_add_f16_e32 v12, v12, v20
	v_add_f16_e32 v18, v5, v17
	v_sub_f16_e32 v5, v17, v5
	v_add_f16_e32 v17, v6, v9
	v_sub_f16_e32 v6, v9, v6
	v_sub_f16_e32 v9, v11, v7
	v_add_f16_e32 v7, v7, v11
	v_add_f16_e32 v11, v10, v13
	v_sub_f16_e32 v10, v13, v10
	v_sub_f16_e32 v13, v14, v16
	v_add_f16_e32 v14, v16, v14
	v_pack_b32_f16 v5, v12, v5
	v_pack_b32_f16 v6, v6, v7
	s_barrier
	v_pack_b32_f16 v11, v11, v13
	v_pack_b32_f16 v9, v17, v9
	;; [unrolled: 1-line block ×3, first 2 shown]
	ds_write2_b32 v15, v5, v6 offset0:28 offset1:35
	v_pack_b32_f16 v5, v10, v14
	v_lshlrev_b32_e32 v10, 2, v4
	ds_write2_b32 v15, v24, v11 offset1:7
	ds_write2_b32 v15, v9, v8 offset0:14 offset1:21
	ds_write_b32 v15, v5 offset:168
	s_waitcnt lgkmcnt(0)
	s_barrier
	global_load_dwordx4 v[4:7], v10, s[8:9] offset:168
	global_load_dwordx2 v[8:9], v10, s[8:9] offset:184
	ds_read2_b32 v[10:11], v1 offset0:49 offset1:98
	ds_read2_b32 v[12:13], v1 offset0:147 offset1:196
	ds_read_b32 v2, v2
	s_waitcnt lgkmcnt(2)
	v_lshrrev_b32_e32 v14, 16, v10
	s_waitcnt vmcnt(1)
	v_mul_f16_sdwa v15, v4, v14 dst_sel:DWORD dst_unused:UNUSED_PAD src0_sel:WORD_1 src1_sel:DWORD
	v_fma_f16 v15, v4, v10, v15
	v_mul_f16_sdwa v10, v4, v10 dst_sel:DWORD dst_unused:UNUSED_PAD src0_sel:WORD_1 src1_sel:DWORD
	v_fma_f16 v10, v4, v14, -v10
	v_lshrrev_b32_e32 v4, 16, v11
	v_mul_f16_sdwa v14, v5, v4 dst_sel:DWORD dst_unused:UNUSED_PAD src0_sel:WORD_1 src1_sel:DWORD
	v_fma_f16 v14, v5, v11, v14
	v_mul_f16_sdwa v11, v5, v11 dst_sel:DWORD dst_unused:UNUSED_PAD src0_sel:WORD_1 src1_sel:DWORD
	v_fma_f16 v5, v5, v4, -v11
	s_waitcnt lgkmcnt(1)
	v_lshrrev_b32_e32 v4, 16, v12
	v_mul_f16_sdwa v11, v6, v4 dst_sel:DWORD dst_unused:UNUSED_PAD src0_sel:WORD_1 src1_sel:DWORD
	v_fma_f16 v11, v6, v12, v11
	v_mul_f16_sdwa v12, v6, v12 dst_sel:DWORD dst_unused:UNUSED_PAD src0_sel:WORD_1 src1_sel:DWORD
	v_fma_f16 v6, v6, v4, -v12
	ds_read2_b32 v[3:4], v3 offset0:117 offset1:166
	v_lshrrev_b32_e32 v12, 16, v13
	v_mul_f16_sdwa v16, v7, v12 dst_sel:DWORD dst_unused:UNUSED_PAD src0_sel:WORD_1 src1_sel:DWORD
	v_fma_f16 v16, v7, v13, v16
	v_mul_f16_sdwa v13, v7, v13 dst_sel:DWORD dst_unused:UNUSED_PAD src0_sel:WORD_1 src1_sel:DWORD
	v_fma_f16 v7, v7, v12, -v13
	s_waitcnt lgkmcnt(0)
	v_lshrrev_b32_e32 v12, 16, v3
	s_waitcnt vmcnt(0)
	v_mul_f16_sdwa v13, v8, v12 dst_sel:DWORD dst_unused:UNUSED_PAD src0_sel:WORD_1 src1_sel:DWORD
	v_fma_f16 v13, v8, v3, v13
	v_mul_f16_sdwa v3, v8, v3 dst_sel:DWORD dst_unused:UNUSED_PAD src0_sel:WORD_1 src1_sel:DWORD
	v_fma_f16 v3, v8, v12, -v3
	v_lshrrev_b32_e32 v8, 16, v4
	v_mul_f16_sdwa v12, v9, v8 dst_sel:DWORD dst_unused:UNUSED_PAD src0_sel:WORD_1 src1_sel:DWORD
	v_fma_f16 v12, v9, v4, v12
	v_mul_f16_sdwa v4, v9, v4 dst_sel:DWORD dst_unused:UNUSED_PAD src0_sel:WORD_1 src1_sel:DWORD
	v_fma_f16 v4, v9, v8, -v4
	v_add_f16_e32 v8, v15, v12
	v_add_f16_e32 v9, v10, v4
	v_sub_f16_e32 v12, v15, v12
	v_sub_f16_e32 v4, v10, v4
	v_add_f16_e32 v10, v14, v13
	v_add_f16_e32 v15, v5, v3
	v_sub_f16_e32 v13, v14, v13
	v_sub_f16_e32 v3, v5, v3
	;; [unrolled: 4-line block ×4, first 2 shown]
	v_sub_f16_e32 v8, v8, v5
	v_sub_f16_e32 v9, v9, v14
	;; [unrolled: 1-line block ×4, first 2 shown]
	v_add_f16_e32 v19, v11, v13
	v_add_f16_e32 v5, v5, v7
	;; [unrolled: 1-line block ×4, first 2 shown]
	v_sub_f16_e32 v16, v11, v13
	v_sub_f16_e32 v11, v12, v11
	;; [unrolled: 1-line block ×3, first 2 shown]
	v_add_f16_e32 v12, v19, v12
	v_sub_f16_e32 v19, v6, v3
	v_sub_f16_e32 v6, v4, v6
	;; [unrolled: 1-line block ×3, first 2 shown]
	v_add_f16_e32 v4, v7, v4
	v_add_f16_e32 v7, v5, v2
	v_add_f16_sdwa v2, v14, v2 dst_sel:DWORD dst_unused:UNUSED_PAD src0_sel:DWORD src1_sel:WORD_1
	v_lshlrev_b32_e32 v20, 16, v2
	v_or_b32_e32 v20, v20, v7
	v_fma_f16 v5, v5, s12, v7
	v_mul_f16_e32 v7, 0x3a52, v8
	v_mul_f16_e32 v8, 0x3a52, v9
	v_fma_f16 v2, v14, s12, v2
	v_mul_f16_e32 v14, 0x2b26, v15
	v_mul_f16_e32 v9, 0x2b26, v10
	v_mul_f16_e32 v16, 0x3846, v16
	v_fma_f16 v15, v15, s13, v8
	v_fma_f16 v14, v18, s11, -v14
	v_fma_f16 v8, v18, s14, -v8
	v_mul_f16_e32 v18, 0xbb00, v13
	v_fma_f16 v10, v10, s13, v7
	v_fma_f16 v9, v17, s11, -v9
	v_fma_f16 v7, v17, s14, -v7
	v_mul_f16_e32 v17, 0x3846, v19
	v_fma_f16 v13, v13, s10, -v16
	v_fma_f16 v16, v11, s7, v16
	v_fma_f16 v11, v11, s15, -v18
	v_mul_f16_e32 v18, 0xbb00, v3
	v_fma_f16 v3, v3, s10, -v17
	v_fma_f16 v17, v6, s7, v17
	v_fma_f16 v6, v6, s15, -v18
	v_add_f16_e32 v10, v10, v5
	v_add_f16_e32 v15, v15, v2
	;; [unrolled: 1-line block ×6, first 2 shown]
	v_fma_f16 v7, v12, s6, v16
	v_fma_f16 v8, v4, s6, v17
	;; [unrolled: 1-line block ×6, first 2 shown]
	v_add_f16_e32 v6, v8, v10
	v_sub_f16_e32 v12, v15, v7
	v_add_f16_e32 v16, v4, v5
	v_sub_f16_e32 v17, v2, v11
	v_sub_f16_e32 v18, v9, v3
	v_add_f16_e32 v3, v3, v9
	v_add_f16_e32 v9, v13, v14
	v_sub_f16_e32 v13, v14, v13
	v_sub_f16_e32 v4, v5, v4
	v_add_f16_e32 v2, v11, v2
	v_sub_f16_e32 v5, v10, v8
	v_add_f16_e32 v7, v7, v15
	v_pack_b32_f16 v6, v6, v12
	v_pack_b32_f16 v3, v3, v13
	;; [unrolled: 1-line block ×3, first 2 shown]
	s_barrier
	ds_write2_b32 v1, v20, v6 offset1:49
	v_pack_b32_f16 v6, v16, v17
	v_pack_b32_f16 v8, v18, v9
	ds_write2_b32 v1, v3, v2 offset0:196 offset1:245
	v_pack_b32_f16 v2, v5, v7
	s_mov_b32 s6, 0x33333334
	ds_write2_b32 v1, v6, v8 offset0:98 offset1:147
	ds_write_b32 v1, v2 offset:1176
	v_mul_hi_u32 v1, v0, s6
	s_waitcnt lgkmcnt(0)
	s_barrier
	v_mul_u32_u24_e32 v2, 5, v1
	v_sub_u32_e32 v0, v0, v2
	v_add_u32_e32 v2, s19, v0
	v_cmp_gt_u32_e32 vcc, s33, v2
	s_or_b64 s[4:5], s[4:5], vcc
	s_and_saveexec_b64 s[6:7], s[4:5]
	s_cbranch_execz .LBB0_17
; %bb.16:
	v_mad_u64_u32 v[2:3], s[4:5], s16, v0, 0
	s_mul_i32 s1, s1, s27
	v_mov_b32_e32 v5, 0
	v_mad_u64_u32 v[3:4], s[4:5], s17, v0, v[3:4]
	s_mul_hi_u32 s4, s0, s27
	s_mul_i32 s0, s0, s27
	s_add_i32 s1, s4, s1
	s_lshl_b64 s[0:1], s[0:1], 2
	s_add_u32 s4, s22, s0
	v_mul_lo_u32 v4, v1, s18
	s_addc_u32 s5, s23, s1
	s_lshl_b64 s[0:1], s[2:3], 2
	v_mul_i32_i24_e32 v0, 0x55c, v0
	v_lshlrev_b32_e32 v1, 2, v1
	s_add_u32 s0, s4, s0
	v_lshlrev_b64 v[2:3], 2, v[2:3]
	v_add3_u32 v6, 0, v0, v1
	s_addc_u32 s1, s5, s1
	ds_read2_b32 v[0:1], v6 offset1:49
	v_mov_b32_e32 v7, s1
	v_add_co_u32_e32 v8, vcc, s0, v2
	v_addc_co_u32_e32 v7, vcc, v7, v3, vcc
	v_lshlrev_b64 v[2:3], 2, v[4:5]
	s_mul_i32 s0, s18, 49
	v_add_co_u32_e32 v2, vcc, v8, v2
	v_addc_co_u32_e32 v3, vcc, v7, v3, vcc
	v_add_u32_e32 v4, s0, v4
	s_waitcnt lgkmcnt(0)
	global_store_dword v[2:3], v0, off
	v_lshlrev_b64 v[2:3], 2, v[4:5]
	v_add_u32_e32 v4, s0, v4
	v_add_co_u32_e32 v2, vcc, v8, v2
	v_addc_co_u32_e32 v3, vcc, v7, v3, vcc
	global_store_dword v[2:3], v1, off
	ds_read2_b32 v[0:1], v6 offset0:98 offset1:147
	v_lshlrev_b64 v[2:3], 2, v[4:5]
	v_add_u32_e32 v4, s0, v4
	v_add_co_u32_e32 v2, vcc, v8, v2
	v_addc_co_u32_e32 v3, vcc, v7, v3, vcc
	s_waitcnt lgkmcnt(0)
	global_store_dword v[2:3], v0, off
	v_lshlrev_b64 v[2:3], 2, v[4:5]
	v_add_u32_e32 v4, s0, v4
	v_add_co_u32_e32 v2, vcc, v8, v2
	v_addc_co_u32_e32 v3, vcc, v7, v3, vcc
	global_store_dword v[2:3], v1, off
	ds_read2_b32 v[0:1], v6 offset0:196 offset1:245
	v_lshlrev_b64 v[2:3], 2, v[4:5]
	v_add_u32_e32 v4, s0, v4
	v_add_co_u32_e32 v2, vcc, v8, v2
	v_addc_co_u32_e32 v3, vcc, v7, v3, vcc
	s_waitcnt lgkmcnt(0)
	global_store_dword v[2:3], v0, off
	v_lshlrev_b64 v[2:3], 2, v[4:5]
	v_add_u32_e32 v4, s0, v4
	v_add_co_u32_e32 v2, vcc, v8, v2
	v_addc_co_u32_e32 v3, vcc, v7, v3, vcc
	global_store_dword v[2:3], v1, off
	ds_read_b32 v2, v6 offset:1176
	v_lshlrev_b64 v[0:1], 2, v[4:5]
	v_add_co_u32_e32 v0, vcc, v8, v0
	v_addc_co_u32_e32 v1, vcc, v7, v1, vcc
	s_waitcnt lgkmcnt(0)
	global_store_dword v[0:1], v2, off
.LBB0_17:
	s_endpgm
	.section	.rodata,"a",@progbits
	.p2align	6, 0x0
	.amdhsa_kernel fft_rtc_back_len343_factors_7_7_7_wgs_245_tpt_49_half_op_CI_CI_sbrc_unaligned
		.amdhsa_group_segment_fixed_size 0
		.amdhsa_private_segment_fixed_size 0
		.amdhsa_kernarg_size 104
		.amdhsa_user_sgpr_count 6
		.amdhsa_user_sgpr_private_segment_buffer 1
		.amdhsa_user_sgpr_dispatch_ptr 0
		.amdhsa_user_sgpr_queue_ptr 0
		.amdhsa_user_sgpr_kernarg_segment_ptr 1
		.amdhsa_user_sgpr_dispatch_id 0
		.amdhsa_user_sgpr_flat_scratch_init 0
		.amdhsa_user_sgpr_private_segment_size 0
		.amdhsa_uses_dynamic_stack 0
		.amdhsa_system_sgpr_private_segment_wavefront_offset 0
		.amdhsa_system_sgpr_workgroup_id_x 1
		.amdhsa_system_sgpr_workgroup_id_y 0
		.amdhsa_system_sgpr_workgroup_id_z 0
		.amdhsa_system_sgpr_workgroup_info 0
		.amdhsa_system_vgpr_workitem_id 0
		.amdhsa_next_free_vgpr 25
		.amdhsa_next_free_sgpr 45
		.amdhsa_reserve_vcc 1
		.amdhsa_reserve_flat_scratch 0
		.amdhsa_float_round_mode_32 0
		.amdhsa_float_round_mode_16_64 0
		.amdhsa_float_denorm_mode_32 3
		.amdhsa_float_denorm_mode_16_64 3
		.amdhsa_dx10_clamp 1
		.amdhsa_ieee_mode 1
		.amdhsa_fp16_overflow 0
		.amdhsa_exception_fp_ieee_invalid_op 0
		.amdhsa_exception_fp_denorm_src 0
		.amdhsa_exception_fp_ieee_div_zero 0
		.amdhsa_exception_fp_ieee_overflow 0
		.amdhsa_exception_fp_ieee_underflow 0
		.amdhsa_exception_fp_ieee_inexact 0
		.amdhsa_exception_int_div_zero 0
	.end_amdhsa_kernel
	.text
.Lfunc_end0:
	.size	fft_rtc_back_len343_factors_7_7_7_wgs_245_tpt_49_half_op_CI_CI_sbrc_unaligned, .Lfunc_end0-fft_rtc_back_len343_factors_7_7_7_wgs_245_tpt_49_half_op_CI_CI_sbrc_unaligned
                                        ; -- End function
	.section	.AMDGPU.csdata,"",@progbits
; Kernel info:
; codeLenInByte = 4896
; NumSgprs: 49
; NumVgprs: 25
; ScratchSize: 0
; MemoryBound: 0
; FloatMode: 240
; IeeeMode: 1
; LDSByteSize: 0 bytes/workgroup (compile time only)
; SGPRBlocks: 6
; VGPRBlocks: 6
; NumSGPRsForWavesPerEU: 49
; NumVGPRsForWavesPerEU: 25
; Occupancy: 9
; WaveLimiterHint : 1
; COMPUTE_PGM_RSRC2:SCRATCH_EN: 0
; COMPUTE_PGM_RSRC2:USER_SGPR: 6
; COMPUTE_PGM_RSRC2:TRAP_HANDLER: 0
; COMPUTE_PGM_RSRC2:TGID_X_EN: 1
; COMPUTE_PGM_RSRC2:TGID_Y_EN: 0
; COMPUTE_PGM_RSRC2:TGID_Z_EN: 0
; COMPUTE_PGM_RSRC2:TIDIG_COMP_CNT: 0
	.type	__hip_cuid_46549a99fa7e137f,@object ; @__hip_cuid_46549a99fa7e137f
	.section	.bss,"aw",@nobits
	.globl	__hip_cuid_46549a99fa7e137f
__hip_cuid_46549a99fa7e137f:
	.byte	0                               ; 0x0
	.size	__hip_cuid_46549a99fa7e137f, 1

	.ident	"AMD clang version 19.0.0git (https://github.com/RadeonOpenCompute/llvm-project roc-6.4.0 25133 c7fe45cf4b819c5991fe208aaa96edf142730f1d)"
	.section	".note.GNU-stack","",@progbits
	.addrsig
	.addrsig_sym __hip_cuid_46549a99fa7e137f
	.amdgpu_metadata
---
amdhsa.kernels:
  - .args:
      - .actual_access:  read_only
        .address_space:  global
        .offset:         0
        .size:           8
        .value_kind:     global_buffer
      - .offset:         8
        .size:           8
        .value_kind:     by_value
      - .actual_access:  read_only
        .address_space:  global
        .offset:         16
        .size:           8
        .value_kind:     global_buffer
      - .actual_access:  read_only
        .address_space:  global
        .offset:         24
        .size:           8
        .value_kind:     global_buffer
      - .actual_access:  read_only
        .address_space:  global
        .offset:         32
        .size:           8
        .value_kind:     global_buffer
      - .offset:         40
        .size:           8
        .value_kind:     by_value
      - .actual_access:  read_only
        .address_space:  global
        .offset:         48
        .size:           8
        .value_kind:     global_buffer
      - .actual_access:  read_only
        .address_space:  global
        .offset:         56
        .size:           8
        .value_kind:     global_buffer
      - .offset:         64
        .size:           4
        .value_kind:     by_value
      - .actual_access:  read_only
        .address_space:  global
        .offset:         72
        .size:           8
        .value_kind:     global_buffer
      - .actual_access:  read_only
        .address_space:  global
        .offset:         80
        .size:           8
        .value_kind:     global_buffer
      - .actual_access:  read_only
        .address_space:  global
        .offset:         88
        .size:           8
        .value_kind:     global_buffer
      - .actual_access:  write_only
        .address_space:  global
        .offset:         96
        .size:           8
        .value_kind:     global_buffer
    .group_segment_fixed_size: 0
    .kernarg_segment_align: 8
    .kernarg_segment_size: 104
    .language:       OpenCL C
    .language_version:
      - 2
      - 0
    .max_flat_workgroup_size: 245
    .name:           fft_rtc_back_len343_factors_7_7_7_wgs_245_tpt_49_half_op_CI_CI_sbrc_unaligned
    .private_segment_fixed_size: 0
    .sgpr_count:     49
    .sgpr_spill_count: 0
    .symbol:         fft_rtc_back_len343_factors_7_7_7_wgs_245_tpt_49_half_op_CI_CI_sbrc_unaligned.kd
    .uniform_work_group_size: 1
    .uses_dynamic_stack: false
    .vgpr_count:     25
    .vgpr_spill_count: 0
    .wavefront_size: 64
amdhsa.target:   amdgcn-amd-amdhsa--gfx906
amdhsa.version:
  - 1
  - 2
...

	.end_amdgpu_metadata
